;; amdgpu-corpus repo=ROCm/rocFFT kind=compiled arch=gfx1030 opt=O3
	.text
	.amdgcn_target "amdgcn-amd-amdhsa--gfx1030"
	.amdhsa_code_object_version 6
	.protected	fft_rtc_back_len396_factors_11_9_4_wgs_44_tpt_44_sp_ip_CI_unitstride_sbrr_R2C_dirReg ; -- Begin function fft_rtc_back_len396_factors_11_9_4_wgs_44_tpt_44_sp_ip_CI_unitstride_sbrr_R2C_dirReg
	.globl	fft_rtc_back_len396_factors_11_9_4_wgs_44_tpt_44_sp_ip_CI_unitstride_sbrr_R2C_dirReg
	.p2align	8
	.type	fft_rtc_back_len396_factors_11_9_4_wgs_44_tpt_44_sp_ip_CI_unitstride_sbrr_R2C_dirReg,@function
fft_rtc_back_len396_factors_11_9_4_wgs_44_tpt_44_sp_ip_CI_unitstride_sbrr_R2C_dirReg: ; @fft_rtc_back_len396_factors_11_9_4_wgs_44_tpt_44_sp_ip_CI_unitstride_sbrr_R2C_dirReg
; %bb.0:
	s_clause 0x2
	s_load_dwordx4 s[8:11], s[4:5], 0x0
	s_load_dwordx2 s[2:3], s[4:5], 0x50
	s_load_dwordx2 s[12:13], s[4:5], 0x18
	v_mul_u32_u24_e32 v1, 0x5d2, v0
	v_mov_b32_e32 v3, 0
	v_add_nc_u32_sdwa v5, s6, v1 dst_sel:DWORD dst_unused:UNUSED_PAD src0_sel:DWORD src1_sel:WORD_1
	v_mov_b32_e32 v1, 0
	v_mov_b32_e32 v6, v3
	v_mov_b32_e32 v2, 0
	s_waitcnt lgkmcnt(0)
	v_cmp_lt_u64_e64 s0, s[10:11], 2
	s_and_b32 vcc_lo, exec_lo, s0
	s_cbranch_vccnz .LBB0_8
; %bb.1:
	s_load_dwordx2 s[0:1], s[4:5], 0x10
	v_mov_b32_e32 v1, 0
	s_add_u32 s6, s12, 8
	v_mov_b32_e32 v2, 0
	s_addc_u32 s7, s13, 0
	s_mov_b64 s[16:17], 1
	s_waitcnt lgkmcnt(0)
	s_add_u32 s14, s0, 8
	s_addc_u32 s15, s1, 0
.LBB0_2:                                ; =>This Inner Loop Header: Depth=1
	s_load_dwordx2 s[18:19], s[14:15], 0x0
                                        ; implicit-def: $vgpr7_vgpr8
	s_mov_b32 s0, exec_lo
	s_waitcnt lgkmcnt(0)
	v_or_b32_e32 v4, s19, v6
	v_cmpx_ne_u64_e32 0, v[3:4]
	s_xor_b32 s1, exec_lo, s0
	s_cbranch_execz .LBB0_4
; %bb.3:                                ;   in Loop: Header=BB0_2 Depth=1
	v_cvt_f32_u32_e32 v4, s18
	v_cvt_f32_u32_e32 v7, s19
	s_sub_u32 s0, 0, s18
	s_subb_u32 s20, 0, s19
	v_fmac_f32_e32 v4, 0x4f800000, v7
	v_rcp_f32_e32 v4, v4
	v_mul_f32_e32 v4, 0x5f7ffffc, v4
	v_mul_f32_e32 v7, 0x2f800000, v4
	v_trunc_f32_e32 v7, v7
	v_fmac_f32_e32 v4, 0xcf800000, v7
	v_cvt_u32_f32_e32 v7, v7
	v_cvt_u32_f32_e32 v4, v4
	v_mul_lo_u32 v8, s0, v7
	v_mul_hi_u32 v9, s0, v4
	v_mul_lo_u32 v10, s20, v4
	v_add_nc_u32_e32 v8, v9, v8
	v_mul_lo_u32 v9, s0, v4
	v_add_nc_u32_e32 v8, v8, v10
	v_mul_hi_u32 v10, v4, v9
	v_mul_lo_u32 v11, v4, v8
	v_mul_hi_u32 v12, v4, v8
	v_mul_hi_u32 v13, v7, v9
	v_mul_lo_u32 v9, v7, v9
	v_mul_hi_u32 v14, v7, v8
	v_mul_lo_u32 v8, v7, v8
	v_add_co_u32 v10, vcc_lo, v10, v11
	v_add_co_ci_u32_e32 v11, vcc_lo, 0, v12, vcc_lo
	v_add_co_u32 v9, vcc_lo, v10, v9
	v_add_co_ci_u32_e32 v9, vcc_lo, v11, v13, vcc_lo
	v_add_co_ci_u32_e32 v10, vcc_lo, 0, v14, vcc_lo
	v_add_co_u32 v8, vcc_lo, v9, v8
	v_add_co_ci_u32_e32 v9, vcc_lo, 0, v10, vcc_lo
	v_add_co_u32 v4, vcc_lo, v4, v8
	v_add_co_ci_u32_e32 v7, vcc_lo, v7, v9, vcc_lo
	v_mul_hi_u32 v8, s0, v4
	v_mul_lo_u32 v10, s20, v4
	v_mul_lo_u32 v9, s0, v7
	v_add_nc_u32_e32 v8, v8, v9
	v_mul_lo_u32 v9, s0, v4
	v_add_nc_u32_e32 v8, v8, v10
	v_mul_hi_u32 v10, v4, v9
	v_mul_lo_u32 v11, v4, v8
	v_mul_hi_u32 v12, v4, v8
	v_mul_hi_u32 v13, v7, v9
	v_mul_lo_u32 v9, v7, v9
	v_mul_hi_u32 v14, v7, v8
	v_mul_lo_u32 v8, v7, v8
	v_add_co_u32 v10, vcc_lo, v10, v11
	v_add_co_ci_u32_e32 v11, vcc_lo, 0, v12, vcc_lo
	v_add_co_u32 v9, vcc_lo, v10, v9
	v_add_co_ci_u32_e32 v9, vcc_lo, v11, v13, vcc_lo
	v_add_co_ci_u32_e32 v10, vcc_lo, 0, v14, vcc_lo
	v_add_co_u32 v8, vcc_lo, v9, v8
	v_add_co_ci_u32_e32 v9, vcc_lo, 0, v10, vcc_lo
	v_add_co_u32 v4, vcc_lo, v4, v8
	v_add_co_ci_u32_e32 v11, vcc_lo, v7, v9, vcc_lo
	v_mul_hi_u32 v13, v5, v4
	v_mad_u64_u32 v[9:10], null, v6, v4, 0
	v_mad_u64_u32 v[7:8], null, v5, v11, 0
	;; [unrolled: 1-line block ×3, first 2 shown]
	v_add_co_u32 v4, vcc_lo, v13, v7
	v_add_co_ci_u32_e32 v7, vcc_lo, 0, v8, vcc_lo
	v_add_co_u32 v4, vcc_lo, v4, v9
	v_add_co_ci_u32_e32 v4, vcc_lo, v7, v10, vcc_lo
	v_add_co_ci_u32_e32 v7, vcc_lo, 0, v12, vcc_lo
	v_add_co_u32 v4, vcc_lo, v4, v11
	v_add_co_ci_u32_e32 v9, vcc_lo, 0, v7, vcc_lo
	v_mul_lo_u32 v10, s19, v4
	v_mad_u64_u32 v[7:8], null, s18, v4, 0
	v_mul_lo_u32 v11, s18, v9
	v_sub_co_u32 v7, vcc_lo, v5, v7
	v_add3_u32 v8, v8, v11, v10
	v_sub_nc_u32_e32 v10, v6, v8
	v_subrev_co_ci_u32_e64 v10, s0, s19, v10, vcc_lo
	v_add_co_u32 v11, s0, v4, 2
	v_add_co_ci_u32_e64 v12, s0, 0, v9, s0
	v_sub_co_u32 v13, s0, v7, s18
	v_sub_co_ci_u32_e32 v8, vcc_lo, v6, v8, vcc_lo
	v_subrev_co_ci_u32_e64 v10, s0, 0, v10, s0
	v_cmp_le_u32_e32 vcc_lo, s18, v13
	v_cmp_eq_u32_e64 s0, s19, v8
	v_cndmask_b32_e64 v13, 0, -1, vcc_lo
	v_cmp_le_u32_e32 vcc_lo, s19, v10
	v_cndmask_b32_e64 v14, 0, -1, vcc_lo
	v_cmp_le_u32_e32 vcc_lo, s18, v7
	;; [unrolled: 2-line block ×3, first 2 shown]
	v_cndmask_b32_e64 v15, 0, -1, vcc_lo
	v_cmp_eq_u32_e32 vcc_lo, s19, v10
	v_cndmask_b32_e64 v7, v15, v7, s0
	v_cndmask_b32_e32 v10, v14, v13, vcc_lo
	v_add_co_u32 v13, vcc_lo, v4, 1
	v_add_co_ci_u32_e32 v14, vcc_lo, 0, v9, vcc_lo
	v_cmp_ne_u32_e32 vcc_lo, 0, v10
	v_cndmask_b32_e32 v8, v14, v12, vcc_lo
	v_cndmask_b32_e32 v10, v13, v11, vcc_lo
	v_cmp_ne_u32_e32 vcc_lo, 0, v7
	v_cndmask_b32_e32 v8, v9, v8, vcc_lo
	v_cndmask_b32_e32 v7, v4, v10, vcc_lo
.LBB0_4:                                ;   in Loop: Header=BB0_2 Depth=1
	s_andn2_saveexec_b32 s0, s1
	s_cbranch_execz .LBB0_6
; %bb.5:                                ;   in Loop: Header=BB0_2 Depth=1
	v_cvt_f32_u32_e32 v4, s18
	s_sub_i32 s1, 0, s18
	v_rcp_iflag_f32_e32 v4, v4
	v_mul_f32_e32 v4, 0x4f7ffffe, v4
	v_cvt_u32_f32_e32 v4, v4
	v_mul_lo_u32 v7, s1, v4
	v_mul_hi_u32 v7, v4, v7
	v_add_nc_u32_e32 v4, v4, v7
	v_mul_hi_u32 v4, v5, v4
	v_mul_lo_u32 v7, v4, s18
	v_add_nc_u32_e32 v8, 1, v4
	v_sub_nc_u32_e32 v7, v5, v7
	v_subrev_nc_u32_e32 v9, s18, v7
	v_cmp_le_u32_e32 vcc_lo, s18, v7
	v_cndmask_b32_e32 v7, v7, v9, vcc_lo
	v_cndmask_b32_e32 v4, v4, v8, vcc_lo
	v_cmp_le_u32_e32 vcc_lo, s18, v7
	v_add_nc_u32_e32 v8, 1, v4
	v_cndmask_b32_e32 v7, v4, v8, vcc_lo
	v_mov_b32_e32 v8, v3
.LBB0_6:                                ;   in Loop: Header=BB0_2 Depth=1
	s_or_b32 exec_lo, exec_lo, s0
	s_load_dwordx2 s[0:1], s[6:7], 0x0
	v_mul_lo_u32 v4, v8, s18
	v_mul_lo_u32 v11, v7, s19
	v_mad_u64_u32 v[9:10], null, v7, s18, 0
	s_add_u32 s16, s16, 1
	s_addc_u32 s17, s17, 0
	s_add_u32 s6, s6, 8
	s_addc_u32 s7, s7, 0
	;; [unrolled: 2-line block ×3, first 2 shown]
	v_add3_u32 v4, v10, v11, v4
	v_sub_co_u32 v5, vcc_lo, v5, v9
	v_sub_co_ci_u32_e32 v4, vcc_lo, v6, v4, vcc_lo
	s_waitcnt lgkmcnt(0)
	v_mul_lo_u32 v6, s1, v5
	v_mul_lo_u32 v4, s0, v4
	v_mad_u64_u32 v[1:2], null, s0, v5, v[1:2]
	v_cmp_ge_u64_e64 s0, s[16:17], s[10:11]
	s_and_b32 vcc_lo, exec_lo, s0
	v_add3_u32 v2, v6, v2, v4
	s_cbranch_vccnz .LBB0_9
; %bb.7:                                ;   in Loop: Header=BB0_2 Depth=1
	v_mov_b32_e32 v5, v7
	v_mov_b32_e32 v6, v8
	s_branch .LBB0_2
.LBB0_8:
	v_mov_b32_e32 v8, v6
	v_mov_b32_e32 v7, v5
.LBB0_9:
	s_lshl_b64 s[0:1], s[10:11], 3
	v_mul_hi_u32 v3, 0x5d1745e, v0
	s_add_u32 s0, s12, s0
	s_addc_u32 s1, s13, s1
	s_load_dwordx2 s[0:1], s[0:1], 0x0
	s_load_dwordx2 s[4:5], s[4:5], 0x20
	v_mul_u32_u24_e32 v3, 44, v3
	v_sub_nc_u32_e32 v26, v0, v3
	v_lshl_add_u32 v30, v26, 3, 0
	s_waitcnt lgkmcnt(0)
	v_mul_lo_u32 v4, s0, v8
	v_mul_lo_u32 v5, s1, v7
	v_mad_u64_u32 v[1:2], null, s0, v7, v[1:2]
	v_cmp_gt_u64_e32 vcc_lo, s[4:5], v[7:8]
	v_add3_u32 v2, v5, v2, v4
	v_lshlrev_b64 v[28:29], 3, v[1:2]
	s_and_saveexec_b32 s1, vcc_lo
	s_cbranch_execz .LBB0_11
; %bb.10:
	v_mov_b32_e32 v27, 0
	v_add_co_u32 v2, s0, s2, v28
	v_add_co_ci_u32_e64 v3, s0, s3, v29, s0
	v_lshlrev_b64 v[0:1], 3, v[26:27]
	v_add_nc_u32_e32 v18, 0x800, v30
	v_add_co_u32 v0, s0, v2, v0
	v_add_co_ci_u32_e64 v1, s0, v3, v1, s0
	v_add_co_u32 v2, s0, 0x800, v0
	v_add_co_ci_u32_e64 v3, s0, 0, v1, s0
	s_clause 0x8
	global_load_dwordx2 v[4:5], v[0:1], off
	global_load_dwordx2 v[6:7], v[0:1], off offset:352
	global_load_dwordx2 v[8:9], v[0:1], off offset:704
	;; [unrolled: 1-line block ×8, first 2 shown]
	s_waitcnt vmcnt(7)
	ds_write2_b64 v30, v[4:5], v[6:7] offset1:44
	s_waitcnt vmcnt(5)
	ds_write2_b64 v30, v[8:9], v[10:11] offset0:88 offset1:132
	s_waitcnt vmcnt(3)
	ds_write2_b64 v30, v[12:13], v[0:1] offset0:176 offset1:220
	;; [unrolled: 2-line block ×3, first 2 shown]
	s_waitcnt vmcnt(0)
	ds_write_b64 v30, v[2:3] offset:2816
.LBB0_11:
	s_or_b32 exec_lo, exec_lo, s1
	s_waitcnt lgkmcnt(0)
	s_barrier
	buffer_gl0_inv
	ds_read2_b64 v[6:9], v30 offset1:36
	ds_read_b64 v[0:1], v30 offset:2880
	ds_read2_b64 v[18:21], v30 offset0:144 offset1:180
	v_add_nc_u32_e32 v27, 0x800, v30
	ds_read2_b64 v[14:17], v30 offset0:216 offset1:252
	ds_read2_b64 v[22:25], v30 offset0:72 offset1:108
	;; [unrolled: 1-line block ×3, first 2 shown]
	s_mov_b32 s1, exec_lo
	s_waitcnt lgkmcnt(0)
	s_barrier
	buffer_gl0_inv
	v_sub_f32_e32 v55, v9, v1
	v_add_f32_e32 v31, v0, v8
	v_add_f32_e32 v49, v1, v9
	v_sub_f32_e32 v32, v8, v0
	v_sub_f32_e32 v65, v19, v17
	v_mul_f32_e32 v41, 0xbf0a6770, v55
	v_sub_f32_e32 v64, v23, v13
	v_mul_f32_e32 v44, 0x3f575c64, v49
	v_add_f32_e32 v35, v12, v22
	v_add_f32_e32 v56, v13, v23
	v_sub_f32_e32 v62, v25, v11
	v_fma_f32 v2, 0x3f575c64, v31, -v41
	v_mul_f32_e32 v46, 0xbf68dda4, v64
	v_sub_f32_e32 v37, v22, v12
	v_add_f32_e32 v34, v10, v24
	v_add_f32_e32 v53, v11, v25
	v_fmamk_f32 v3, v32, 0xbf0a6770, v44
	v_mul_f32_e32 v48, 0x3ed4b147, v56
	v_mul_f32_e32 v42, 0xbf7d64f0, v62
	v_add_f32_e32 v2, v6, v2
	v_fma_f32 v4, 0x3ed4b147, v35, -v46
	v_add_f32_e32 v33, v16, v18
	v_add_f32_e32 v52, v17, v19
	v_sub_f32_e32 v36, v24, v10
	v_mul_f32_e32 v45, 0xbe11bafb, v53
	v_add_f32_e32 v3, v7, v3
	v_fmamk_f32 v5, v37, 0xbf68dda4, v48
	v_fma_f32 v39, 0xbe11bafb, v34, -v42
	v_add_f32_e32 v2, v4, v2
	v_mul_f32_e32 v43, 0xbf4178ce, v65
	v_mul_f32_e32 v58, 0xbf68dda4, v55
	;; [unrolled: 1-line block ×3, first 2 shown]
	v_fmamk_f32 v40, v36, 0xbf7d64f0, v45
	v_add_f32_e32 v3, v5, v3
	v_sub_f32_e32 v38, v18, v16
	v_mul_f32_e32 v47, 0xbf27a4f4, v52
	v_add_f32_e32 v2, v39, v2
	v_fma_f32 v4, 0xbf27a4f4, v33, -v43
	v_fma_f32 v57, 0x3ed4b147, v31, -v58
	v_mul_f32_e32 v59, 0xbf4178ce, v64
	v_fmamk_f32 v60, v32, 0xbf68dda4, v68
	v_mul_f32_e32 v69, 0xbf27a4f4, v56
	v_add_f32_e32 v3, v40, v3
	v_fmamk_f32 v5, v38, 0xbf4178ce, v47
	v_add_f32_e32 v2, v4, v2
	v_add_f32_e32 v4, v6, v57
	v_fma_f32 v57, 0xbf27a4f4, v35, -v59
	v_add_f32_e32 v60, v7, v60
	v_fmamk_f32 v63, v37, 0xbf4178ce, v69
	v_mul_f32_e32 v61, 0x3e903f40, v62
	v_mul_f32_e32 v67, 0xbf75a155, v53
	v_sub_f32_e32 v70, v21, v15
	v_add_f32_e32 v54, v15, v21
	v_add_f32_e32 v3, v5, v3
	;; [unrolled: 1-line block ×4, first 2 shown]
	v_fma_f32 v57, 0xbf75a155, v34, -v61
	v_fmamk_f32 v63, v36, 0x3e903f40, v67
	v_mul_f32_e32 v60, 0x3f7d64f0, v65
	v_mul_f32_e32 v66, 0xbe11bafb, v52
	v_add_f32_e32 v39, v14, v20
	v_sub_f32_e32 v40, v20, v14
	v_mul_f32_e32 v50, 0xbe903f40, v70
	v_mul_f32_e32 v51, 0xbf75a155, v54
	v_add_f32_e32 v4, v57, v4
	v_add_f32_e32 v5, v63, v5
	v_fma_f32 v72, 0xbe11bafb, v33, -v60
	v_fmamk_f32 v73, v38, 0x3f7d64f0, v66
	v_mul_f32_e32 v57, 0x3f0a6770, v70
	v_mul_f32_e32 v63, 0x3f575c64, v54
	v_fma_f32 v71, 0xbf75a155, v39, -v50
	v_fmamk_f32 v74, v40, 0xbe903f40, v51
	v_add_f32_e32 v72, v72, v4
	v_add_f32_e32 v73, v73, v5
	v_fma_f32 v75, 0x3f575c64, v39, -v57
	v_fmamk_f32 v76, v40, 0x3f0a6770, v63
	v_add_f32_e32 v4, v71, v2
	v_add_f32_e32 v5, v74, v3
	;; [unrolled: 1-line block ×4, first 2 shown]
	v_cmpx_gt_u32_e32 36, v26
	s_cbranch_execz .LBB0_13
; %bb.12:
	v_add_f32_e32 v9, v7, v9
	v_add_f32_e32 v8, v6, v8
	v_mul_f32_e32 v71, 0xbe903f40, v32
	v_mul_f32_e32 v73, 0xbe903f40, v55
	;; [unrolled: 1-line block ×3, first 2 shown]
	v_add_f32_e32 v9, v9, v23
	v_mul_f32_e32 v23, 0x3f0a6770, v64
	v_add_f32_e32 v8, v8, v22
	v_fmamk_f32 v22, v49, 0xbf75a155, v71
	v_fma_f32 v74, 0xbf75a155, v31, -v73
	v_add_f32_e32 v9, v9, v25
	v_fmamk_f32 v25, v56, 0x3f575c64, v72
	v_add_f32_e32 v8, v8, v24
	v_add_f32_e32 v22, v7, v22
	;; [unrolled: 1-line block ×4, first 2 shown]
	v_fma_f32 v19, 0x3f575c64, v35, -v23
	v_mul_f32_e32 v74, 0xbf4178ce, v36
	v_add_f32_e32 v8, v8, v18
	v_mul_f32_e32 v18, 0xbf4178ce, v62
	v_add_f32_e32 v22, v25, v22
	v_add_f32_e32 v19, v19, v24
	v_fmamk_f32 v24, v53, 0xbf27a4f4, v74
	v_mul_f32_e32 v25, 0x3f68dda4, v38
	v_fma_f32 v75, 0xbf27a4f4, v34, -v18
	v_mul_f32_e32 v76, 0x3f68dda4, v65
	v_add_f32_e32 v77, v9, v21
	v_add_f32_e32 v9, v24, v22
	v_fmamk_f32 v21, v52, 0x3ed4b147, v25
	v_add_f32_e32 v24, v8, v20
	v_fma_f32 v8, 0xbf75a155, v49, -v71
	v_add_f32_e32 v19, v75, v19
	v_fma_f32 v22, 0x3ed4b147, v33, -v76
	v_add_f32_e32 v9, v21, v9
	v_fmac_f32_e32 v73, 0xbf75a155, v31
	v_mul_f32_e32 v20, 0xbf7d64f0, v40
	v_add_f32_e32 v8, v7, v8
	v_fma_f32 v21, 0x3f575c64, v56, -v72
	v_add_f32_e32 v19, v22, v19
	v_add_f32_e32 v22, v6, v73
	v_fmac_f32_e32 v23, 0x3f575c64, v35
	v_fmamk_f32 v71, v54, 0xbe11bafb, v20
	v_mul_f32_e32 v72, 0xbf7d64f0, v70
	v_add_f32_e32 v8, v21, v8
	v_fma_f32 v21, 0xbf27a4f4, v53, -v74
	v_add_f32_e32 v22, v23, v22
	v_fmac_f32_e32 v18, 0xbf27a4f4, v34
	v_add_f32_e32 v9, v71, v9
	v_fma_f32 v23, 0xbe11bafb, v39, -v72
	v_add_f32_e32 v21, v21, v8
	v_fma_f32 v25, 0x3ed4b147, v52, -v25
	v_mul_f32_e32 v71, 0xbf27a4f4, v49
	v_mul_f32_e32 v73, 0xbf4178ce, v55
	v_add_f32_e32 v18, v18, v22
	v_fmac_f32_e32 v76, 0x3ed4b147, v33
	v_add_f32_e32 v8, v23, v19
	v_add_f32_e32 v19, v25, v21
	v_fmamk_f32 v21, v32, 0x3f4178ce, v71
	v_mul_f32_e32 v74, 0xbe11bafb, v56
	v_fmamk_f32 v22, v31, 0xbf27a4f4, v73
	v_mul_f32_e32 v75, 0x3f7d64f0, v64
	v_add_f32_e32 v18, v76, v18
	v_add_f32_e32 v21, v7, v21
	v_fmamk_f32 v23, v37, 0xbf7d64f0, v74
	v_mul_f32_e32 v76, 0x3f575c64, v53
	v_add_f32_e32 v22, v6, v22
	v_fmamk_f32 v25, v35, 0xbe11bafb, v75
	v_mul_f32_e32 v78, 0xbf0a6770, v62
	;; [unrolled: 3-line block ×4, first 2 shown]
	v_fma_f32 v20, 0xbe11bafb, v54, -v20
	v_add_f32_e32 v21, v23, v21
	v_fmamk_f32 v23, v38, 0x3e903f40, v79
	v_add_f32_e32 v22, v25, v22
	v_fmamk_f32 v25, v33, 0xbf75a155, v80
	v_mul_f32_e32 v81, 0x3ed4b147, v54
	v_mul_f32_e32 v82, 0x3f68dda4, v70
	v_add_f32_e32 v19, v20, v19
	v_add_f32_e32 v20, v23, v21
	;; [unrolled: 1-line block ×3, first 2 shown]
	v_fmamk_f32 v21, v40, 0xbf68dda4, v81
	v_fmamk_f32 v23, v39, 0x3ed4b147, v82
	v_mul_f32_e32 v25, 0xbf7d64f0, v32
	v_mul_f32_e32 v84, 0x3f68dda4, v36
	;; [unrolled: 1-line block ×3, first 2 shown]
	v_add_f32_e32 v21, v21, v20
	v_add_f32_e32 v20, v23, v22
	v_fma_f32 v22, 0xbe11bafb, v49, -v25
	v_mul_f32_e32 v23, 0x3e903f40, v37
	v_mul_f32_e32 v87, 0xbf4178ce, v40
	v_fmamk_f32 v25, v49, 0xbe11bafb, v25
	v_fmac_f32_e32 v72, 0xbe11bafb, v39
	v_add_f32_e32 v22, v7, v22
	v_fma_f32 v83, 0xbf75a155, v56, -v23
	v_fma_f32 v49, 0xbf27a4f4, v54, -v87
	v_fmamk_f32 v56, v56, 0xbf75a155, v23
	v_add_f32_e32 v25, v7, v25
	v_mul_f32_e32 v55, 0xbf7d64f0, v55
	v_add_f32_e32 v22, v83, v22
	v_fma_f32 v83, 0x3ed4b147, v53, -v84
	v_fmamk_f32 v53, v53, 0x3ed4b147, v84
	v_add_f32_e32 v25, v56, v25
	v_add_f32_e32 v18, v72, v18
	v_fma_f32 v72, 0xbe11bafb, v31, -v55
	v_add_f32_e32 v22, v83, v22
	v_fma_f32 v83, 0x3f575c64, v52, -v86
	v_add_f32_e32 v25, v53, v25
	v_fmamk_f32 v52, v52, 0x3f575c64, v86
	v_fmac_f32_e32 v55, 0xbe11bafb, v31
	v_mul_f32_e32 v64, 0x3e903f40, v64
	v_add_f32_e32 v22, v83, v22
	v_mul_f32_e32 v83, 0xbf68dda4, v32
	v_add_f32_e32 v25, v52, v25
	;; [unrolled: 2-line block ×3, first 2 shown]
	v_add_f32_e32 v23, v49, v22
	v_mul_f32_e32 v49, 0xbf4178ce, v37
	v_sub_f32_e32 v68, v68, v83
	v_fma_f32 v85, 0xbf75a155, v35, -v64
	v_fmac_f32_e32 v64, 0xbf75a155, v35
	v_mul_f32_e32 v62, 0x3f68dda4, v62
	v_sub_f32_e32 v49, v69, v49
	v_add_f32_e32 v56, v7, v68
	v_mul_f32_e32 v68, 0x3e903f40, v36
	v_mul_f32_e32 v69, 0x3ed4b147, v31
	v_add_f32_e32 v52, v52, v60
	v_add_f32_e32 v55, v64, v55
	;; [unrolled: 1-line block ×3, first 2 shown]
	v_sub_f32_e32 v56, v67, v68
	v_mul_f32_e32 v67, 0xbf27a4f4, v35
	v_add_f32_e32 v58, v69, v58
	v_fma_f32 v64, 0x3ed4b147, v34, -v62
	v_fmac_f32_e32 v62, 0x3ed4b147, v34
	v_add_f32_e32 v49, v56, v49
	v_add_f32_e32 v59, v67, v59
	;; [unrolled: 1-line block ×3, first 2 shown]
	v_mul_f32_e32 v67, 0xbf75a155, v34
	v_mul_f32_e32 v65, 0xbf0a6770, v65
	v_add_f32_e32 v55, v62, v55
	v_mul_f32_e32 v70, 0xbf4178ce, v70
	v_add_f32_e32 v56, v59, v58
	v_add_f32_e32 v58, v67, v61
	v_fma_f32 v62, 0x3f575c64, v33, -v65
	v_fmac_f32_e32 v65, 0x3f575c64, v33
	v_mul_f32_e32 v60, 0xbf68dda4, v37
	v_add_f32_e32 v15, v77, v15
	v_add_f32_e32 v56, v58, v56
	v_mul_f32_e32 v58, 0xbf0a6770, v32
	v_add_f32_e32 v55, v65, v55
	v_fma_f32 v65, 0xbf27a4f4, v39, -v70
	v_fmac_f32_e32 v70, 0xbf27a4f4, v39
	v_add_f32_e32 v52, v52, v56
	v_mul_f32_e32 v56, 0x3f575c64, v31
	v_sub_f32_e32 v44, v44, v58
	v_mul_f32_e32 v58, 0x3ed4b147, v35
	v_fmac_f32_e32 v71, 0xbf4178ce, v32
	v_fma_f32 v31, 0xbf27a4f4, v31, -v73
	v_add_f32_e32 v41, v56, v41
	v_sub_f32_e32 v48, v48, v60
	v_add_f32_e32 v44, v7, v44
	v_mul_f32_e32 v56, 0xbf7d64f0, v36
	v_add_f32_e32 v46, v58, v46
	v_add_f32_e32 v41, v6, v41
	v_mul_f32_e32 v58, 0xbe11bafb, v34
	v_add_f32_e32 v14, v24, v14
	v_mul_f32_e32 v53, 0x3f7d64f0, v38
	v_add_f32_e32 v22, v70, v55
	v_add_f32_e32 v55, v6, v72
	;; [unrolled: 1-line block ×4, first 2 shown]
	v_fmac_f32_e32 v74, 0x3f7d64f0, v37
	v_add_f32_e32 v6, v6, v31
	v_fma_f32 v17, 0xbe11bafb, v35, -v75
	v_add_f32_e32 v44, v48, v44
	v_sub_f32_e32 v45, v45, v56
	v_mul_f32_e32 v48, 0xbf4178ce, v38
	v_add_f32_e32 v41, v46, v41
	v_add_f32_e32 v42, v58, v42
	v_mul_f32_e32 v46, 0xbf27a4f4, v33
	v_add_f32_e32 v14, v14, v16
	v_sub_f32_e32 v53, v66, v53
	v_mul_f32_e32 v59, 0x3f0a6770, v40
	v_add_f32_e32 v11, v15, v11
	v_add_f32_e32 v7, v74, v7
	v_fmac_f32_e32 v76, 0xbf0a6770, v36
	v_add_f32_e32 v6, v17, v6
	v_fma_f32 v15, 0x3f575c64, v34, -v78
	v_add_f32_e32 v55, v85, v55
	v_add_f32_e32 v44, v45, v44
	v_sub_f32_e32 v45, v47, v48
	v_mul_f32_e32 v47, 0xbe903f40, v40
	v_add_f32_e32 v41, v42, v41
	v_add_f32_e32 v42, v46, v43
	v_mul_f32_e32 v43, 0xbf75a155, v39
	v_add_f32_e32 v10, v14, v10
	v_add_f32_e32 v49, v53, v49
	v_sub_f32_e32 v53, v63, v59
	v_mul_f32_e32 v59, 0x3f575c64, v39
	v_add_f32_e32 v11, v11, v13
	v_add_f32_e32 v7, v76, v7
	v_fmac_f32_e32 v79, 0xbe903f40, v38
	v_add_f32_e32 v6, v15, v6
	v_fma_f32 v13, 0xbf75a155, v33, -v80
	v_add_f32_e32 v55, v64, v55
	v_add_f32_e32 v44, v45, v44
	v_sub_f32_e32 v45, v51, v47
	v_add_f32_e32 v42, v42, v41
	v_add_f32_e32 v46, v43, v50
	;; [unrolled: 1-line block ×6, first 2 shown]
	v_fmac_f32_e32 v81, 0x3f68dda4, v40
	v_add_f32_e32 v6, v13, v6
	v_fma_f32 v11, 0x3ed4b147, v39, -v82
	v_fmamk_f32 v54, v54, 0xbf27a4f4, v87
	v_add_f32_e32 v55, v62, v55
	v_add_f32_e32 v43, v45, v44
	;; [unrolled: 1-line block ×4, first 2 shown]
	v_mad_u32_u24 v10, 0x50, v26, v30
	v_add_f32_e32 v41, v53, v49
	v_add_f32_e32 v40, v57, v52
	;; [unrolled: 1-line block ×6, first 2 shown]
	ds_write2_b64 v10, v[0:1], v[42:43] offset1:1
	ds_write2_b64 v10, v[40:41], v[22:23] offset0:2 offset1:3
	ds_write2_b64 v10, v[20:21], v[18:19] offset0:4 offset1:5
	ds_write2_b64 v10, v[8:9], v[6:7] offset0:6 offset1:7
	ds_write2_b64 v10, v[24:25], v[2:3] offset0:8 offset1:9
	ds_write_b64 v10, v[4:5] offset:80
.LBB0_13:
	s_or_b32 exec_lo, exec_lo, s1
	v_and_b32_e32 v0, 0xff, v26
	s_waitcnt lgkmcnt(0)
	s_barrier
	buffer_gl0_inv
	v_mov_b32_e32 v45, 0x318
	v_mul_lo_u16 v0, 0x75, v0
	v_mov_b32_e32 v46, 3
	v_cmp_gt_u32_e64 s0, 11, v26
	v_lshrrev_b16 v0, 8, v0
	v_sub_nc_u16 v1, v26, v0
	v_lshrrev_b16 v1, 1, v1
	v_and_b32_e32 v1, 0x7f, v1
	v_add_nc_u16 v0, v1, v0
	v_mov_b32_e32 v1, 6
	v_lshrrev_b16 v43, 3, v0
	v_mul_lo_u16 v0, v43, 11
	v_mul_u32_u24_sdwa v43, v43, v45 dst_sel:DWORD dst_unused:UNUSED_PAD src0_sel:WORD_0 src1_sel:DWORD
	v_sub_nc_u16 v44, v26, v0
	v_lshlrev_b32_sdwa v0, v1, v44 dst_sel:DWORD dst_unused:UNUSED_PAD src0_sel:DWORD src1_sel:BYTE_0
	v_lshlrev_b32_sdwa v44, v46, v44 dst_sel:DWORD dst_unused:UNUSED_PAD src0_sel:DWORD src1_sel:BYTE_0
	s_clause 0x3
	global_load_dwordx4 v[6:9], v0, s[8:9]
	global_load_dwordx4 v[10:13], v0, s[8:9] offset:16
	global_load_dwordx4 v[14:17], v0, s[8:9] offset:32
	global_load_dwordx4 v[18:21], v0, s[8:9] offset:48
	ds_read2_b64 v[22:25], v30 offset1:44
	ds_read2_b64 v[31:34], v30 offset0:88 offset1:132
	ds_read2_b64 v[35:38], v30 offset0:176 offset1:220
	;; [unrolled: 1-line block ×3, first 2 shown]
	ds_read_b64 v[0:1], v30 offset:2816
	v_add3_u32 v43, 0, v43, v44
	s_waitcnt vmcnt(0) lgkmcnt(0)
	s_barrier
	buffer_gl0_inv
	v_mul_f32_e32 v44, v7, v25
	v_mul_f32_e32 v7, v7, v24
	;; [unrolled: 1-line block ×16, first 2 shown]
	v_fmac_f32_e32 v44, v6, v24
	v_fma_f32 v6, v6, v25, -v7
	v_fmac_f32_e32 v45, v8, v31
	v_fma_f32 v7, v8, v32, -v9
	;; [unrolled: 2-line block ×7, first 2 shown]
	v_fma_f32 v11, v40, v16, -v17
	v_fmac_f32_e32 v49, v39, v16
	v_sub_f32_e32 v21, v9, v10
	v_add_f32_e32 v14, v45, v50
	v_add_f32_e32 v15, v7, v1
	v_add_f32_e32 v17, v8, v11
	v_sub_f32_e32 v8, v8, v11
	v_sub_f32_e32 v11, v47, v48
	v_add_f32_e32 v24, v47, v48
	v_add_f32_e32 v25, v9, v10
	;; [unrolled: 1-line block ×4, first 2 shown]
	v_sub_f32_e32 v18, v44, v51
	v_sub_f32_e32 v0, v6, v0
	v_add_f32_e32 v16, v46, v49
	v_sub_f32_e32 v19, v45, v50
	v_sub_f32_e32 v1, v7, v1
	v_sub_f32_e32 v20, v46, v49
	v_mul_f32_e32 v44, 0x3f7c1c5c, v11
	v_mul_f32_e32 v45, 0x3f7c1c5c, v21
	v_fmamk_f32 v46, v14, 0x3f441b7d, v22
	v_fmamk_f32 v49, v15, 0x3f441b7d, v23
	v_mul_f32_e32 v35, 0xbf248dbb, v11
	v_mul_f32_e32 v36, 0xbf248dbb, v21
	v_fmamk_f32 v37, v24, 0x3f441b7d, v22
	v_fmamk_f32 v38, v25, 0x3f441b7d, v23
	;; [unrolled: 4-line block ×3, first 2 shown]
	v_add_f32_e32 v41, v14, v12
	v_add_f32_e32 v42, v15, v13
	v_fma_f32 v44, 0xbf248dbb, v19, -v44
	v_fma_f32 v45, 0xbf248dbb, v1, -v45
	v_fmac_f32_e32 v46, 0x3e31d0d4, v24
	v_fmac_f32_e32 v49, 0x3e31d0d4, v25
	;; [unrolled: 1-line block ×10, first 2 shown]
	v_add_f32_e32 v50, v24, v41
	v_add_f32_e32 v51, v25, v42
	;; [unrolled: 1-line block ×4, first 2 shown]
	v_fmac_f32_e32 v44, 0x3f5db3d7, v20
	v_fmac_f32_e32 v45, 0x3f5db3d7, v8
	v_fmac_f32_e32 v46, -0.5, v16
	v_fmac_f32_e32 v49, -0.5, v17
	v_add_f32_e32 v39, v11, v18
	v_add_f32_e32 v40, v21, v0
	;; [unrolled: 1-line block ×4, first 2 shown]
	v_fmac_f32_e32 v35, 0xbf5db3d7, v20
	v_fmac_f32_e32 v36, 0xbf5db3d7, v8
	v_fmac_f32_e32 v37, -0.5, v16
	v_fmac_f32_e32 v38, -0.5, v17
	v_fmac_f32_e32 v31, 0x3f5db3d7, v20
	v_fmac_f32_e32 v32, 0x3f5db3d7, v8
	v_fmac_f32_e32 v33, -0.5, v16
	v_fmac_f32_e32 v34, -0.5, v17
	v_add_f32_e32 v8, v47, v41
	v_add_f32_e32 v9, v9, v42
	v_fmac_f32_e32 v44, 0x3eaf1d44, v18
	v_fmac_f32_e32 v45, 0x3eaf1d44, v0
	;; [unrolled: 1-line block ×4, first 2 shown]
	v_sub_f32_e32 v39, v39, v19
	v_sub_f32_e32 v40, v40, v1
	v_fmac_f32_e32 v6, -0.5, v50
	v_fmac_f32_e32 v7, -0.5, v51
	v_fmac_f32_e32 v35, 0x3eaf1d44, v19
	v_fmac_f32_e32 v36, 0x3eaf1d44, v1
	;; [unrolled: 1-line block ×8, first 2 shown]
	v_add_f32_e32 v0, v48, v8
	v_add_f32_e32 v1, v10, v9
	v_sub_f32_e32 v16, v46, v45
	v_add_f32_e32 v17, v44, v49
	v_mul_f32_e32 v52, 0x3f5db3d7, v39
	v_mul_f32_e32 v53, 0x3f5db3d7, v40
	v_fmac_f32_e32 v6, 0xbf5db3d7, v40
	v_fmac_f32_e32 v7, 0x3f5db3d7, v39
	v_sub_f32_e32 v10, v37, v36
	v_add_f32_e32 v11, v35, v38
	v_sub_f32_e32 v8, v33, v32
	v_add_f32_e32 v9, v31, v34
	v_add_f32_e32 v14, v22, v0
	;; [unrolled: 1-line block ×3, first 2 shown]
	v_fma_f32 v20, 2.0, v45, v16
	v_fma_f32 v21, -2.0, v44, v17
	v_fma_f32 v12, 2.0, v53, v6
	v_fma_f32 v13, -2.0, v52, v7
	;; [unrolled: 2-line block ×4, first 2 shown]
	ds_write2_b64 v43, v[14:15], v[8:9] offset1:11
	ds_write2_b64 v43, v[10:11], v[6:7] offset0:22 offset1:33
	ds_write2_b64 v43, v[16:17], v[20:21] offset0:44 offset1:55
	;; [unrolled: 1-line block ×3, first 2 shown]
	ds_write_b64 v43, v[0:1] offset:704
	s_waitcnt lgkmcnt(0)
	s_barrier
	buffer_gl0_inv
	ds_read2_b64 v[8:11], v30 offset1:44
	ds_read2_b64 v[12:15], v30 offset0:99 offset1:143
	ds_read2_b64 v[16:19], v30 offset0:198 offset1:242
	;; [unrolled: 1-line block ×3, first 2 shown]
	s_and_saveexec_b32 s1, s0
	s_cbranch_execz .LBB0_15
; %bb.14:
	v_add_nc_u32_e32 v4, 0x800, v30
	ds_read2_b64 v[0:3], v30 offset0:88 offset1:187
	ds_read2_b64 v[4:7], v4 offset0:30 offset1:129
.LBB0_15:
	s_or_b32 exec_lo, exec_lo, s1
	v_mul_u32_u24_e32 v24, 3, v26
	v_lshlrev_b32_e32 v24, 3, v24
	s_clause 0x3
	global_load_dwordx4 v[31:34], v24, s[8:9] offset:704
	global_load_dwordx2 v[39:40], v24, s[8:9] offset:720
	global_load_dwordx4 v[35:38], v24, s[8:9] offset:1760
	global_load_dwordx2 v[41:42], v24, s[8:9] offset:1776
	v_add_nc_u32_e32 v24, 0x800, v30
	s_waitcnt vmcnt(0) lgkmcnt(0)
	s_barrier
	buffer_gl0_inv
	v_mul_f32_e32 v25, v32, v13
	v_mul_f32_e32 v27, v32, v12
	;; [unrolled: 1-line block ×12, first 2 shown]
	v_fmac_f32_e32 v25, v31, v12
	v_fma_f32 v12, v31, v13, -v27
	v_fmac_f32_e32 v32, v33, v16
	v_fma_f32 v13, v33, v17, -v34
	;; [unrolled: 2-line block ×6, first 2 shown]
	v_sub_f32_e32 v18, v8, v32
	v_sub_f32_e32 v19, v9, v13
	;; [unrolled: 1-line block ×8, first 2 shown]
	v_fma_f32 v22, v8, 2.0, -v18
	v_fma_f32 v23, v9, 2.0, -v19
	v_fma_f32 v25, v25, 2.0, -v13
	v_fma_f32 v27, v12, 2.0, -v16
	v_add_f32_e32 v8, v18, v16
	v_fma_f32 v31, v10, 2.0, -v20
	v_fma_f32 v32, v11, 2.0, -v21
	;; [unrolled: 1-line block ×4, first 2 shown]
	v_sub_f32_e32 v9, v19, v13
	v_add_f32_e32 v10, v20, v17
	v_sub_f32_e32 v11, v21, v15
	v_sub_f32_e32 v12, v22, v25
	;; [unrolled: 1-line block ×5, first 2 shown]
	v_fma_f32 v14, v18, 2.0, -v8
	v_fma_f32 v15, v19, 2.0, -v9
	;; [unrolled: 1-line block ×8, first 2 shown]
	ds_write2_b64 v30, v[14:15], v[18:19] offset0:99 offset1:143
	ds_write2_b64 v30, v[12:13], v[16:17] offset0:198 offset1:242
	ds_write2_b64 v30, v[20:21], v[22:23] offset1:44
	ds_write2_b64 v24, v[8:9], v[10:11] offset0:41 offset1:85
	s_and_saveexec_b32 s1, s0
	s_cbranch_execz .LBB0_17
; %bb.16:
	v_add_nc_u32_e32 v8, 0x58, v26
	v_add_nc_u32_e32 v9, -11, v26
	v_cndmask_b32_e64 v8, v9, v8, s0
	v_mov_b32_e32 v9, 0
	v_mul_i32_i24_e32 v8, 3, v8
	v_lshlrev_b64 v[8:9], 3, v[8:9]
	v_add_co_u32 v12, s0, s8, v8
	v_add_co_ci_u32_e64 v13, s0, s9, v9, s0
	s_clause 0x1
	global_load_dwordx4 v[8:11], v[12:13], off offset:704
	global_load_dwordx2 v[12:13], v[12:13], off offset:720
	s_waitcnt vmcnt(1)
	v_mul_f32_e32 v14, v4, v11
	v_mul_f32_e32 v15, v3, v9
	s_waitcnt vmcnt(0)
	v_mul_f32_e32 v16, v7, v13
	v_mul_f32_e32 v9, v2, v9
	;; [unrolled: 1-line block ×4, first 2 shown]
	v_fma_f32 v5, v5, v10, -v14
	v_fmac_f32_e32 v15, v2, v8
	v_fma_f32 v2, v3, v8, -v9
	v_fma_f32 v3, v7, v12, -v13
	v_fmac_f32_e32 v11, v4, v10
	v_fmac_f32_e32 v16, v6, v12
	v_sub_f32_e32 v4, v1, v5
	v_sub_f32_e32 v3, v2, v3
	;; [unrolled: 1-line block ×4, first 2 shown]
	v_fma_f32 v7, v1, 2.0, -v4
	v_fma_f32 v2, v2, 2.0, -v3
	;; [unrolled: 1-line block ×4, first 2 shown]
	v_sub_f32_e32 v1, v4, v5
	v_add_f32_e32 v0, v6, v3
	v_sub_f32_e32 v3, v7, v2
	v_sub_f32_e32 v2, v8, v9
	v_fma_f32 v5, v4, 2.0, -v1
	v_fma_f32 v4, v6, 2.0, -v0
	;; [unrolled: 1-line block ×4, first 2 shown]
	ds_write2_b64 v30, v[6:7], v[4:5] offset0:88 offset1:187
	ds_write2_b64 v24, v[2:3], v[0:1] offset0:30 offset1:129
.LBB0_17:
	s_or_b32 exec_lo, exec_lo, s1
	s_waitcnt lgkmcnt(0)
	s_barrier
	buffer_gl0_inv
	ds_read_b64 v[0:1], v30
	v_lshlrev_b32_e32 v2, 3, v26
	s_add_u32 s1, s8, 0xc08
	s_addc_u32 s4, s9, 0
	s_mov_b32 s5, exec_lo
                                        ; implicit-def: $vgpr5
                                        ; implicit-def: $vgpr7
	v_sub_nc_u32_e32 v6, 0, v2
                                        ; implicit-def: $vgpr2_vgpr3
	v_cmpx_ne_u32_e32 0, v26
	s_xor_b32 s5, exec_lo, s5
	s_cbranch_execz .LBB0_19
; %bb.18:
	v_mov_b32_e32 v27, 0
	ds_read_b64 v[4:5], v6 offset:3168
	v_lshlrev_b64 v[2:3], 3, v[26:27]
	v_add_co_u32 v2, s0, s1, v2
	v_add_co_ci_u32_e64 v3, s0, s4, v3, s0
	global_load_dwordx2 v[2:3], v[2:3], off
	s_waitcnt lgkmcnt(0)
	v_sub_f32_e32 v7, v0, v4
	v_add_f32_e32 v8, v5, v1
	v_sub_f32_e32 v1, v1, v5
	v_add_f32_e32 v0, v4, v0
	v_mul_f32_e32 v5, 0.5, v7
	v_mul_f32_e32 v4, 0.5, v8
	;; [unrolled: 1-line block ×3, first 2 shown]
	s_waitcnt vmcnt(0)
	v_mul_f32_e32 v7, v3, v5
	v_fma_f32 v8, v4, v3, v1
	v_fma_f32 v1, v4, v3, -v1
	v_fma_f32 v9, 0.5, v0, v7
	v_fma_f32 v0, v0, 0.5, -v7
	v_fma_f32 v7, -v2, v5, v8
	v_fma_f32 v5, -v2, v5, v1
	v_fmac_f32_e32 v9, v2, v4
	v_fma_f32 v4, -v2, v4, v0
	v_mov_b32_e32 v2, v26
	v_mov_b32_e32 v3, v27
                                        ; implicit-def: $vgpr0_vgpr1
	ds_write_b32 v30, v9
.LBB0_19:
	s_andn2_saveexec_b32 s0, s5
	s_cbranch_execz .LBB0_21
; %bb.20:
	v_mov_b32_e32 v7, 0
	s_waitcnt lgkmcnt(0)
	v_add_f32_e32 v8, v0, v1
	v_sub_f32_e32 v4, v0, v1
	ds_read_b32 v2, v7 offset:1588
	v_mov_b32_e32 v5, v7
	s_waitcnt lgkmcnt(0)
	v_xor_b32_e32 v0, 0x80000000, v2
	v_mov_b32_e32 v2, 0
	v_mov_b32_e32 v3, 0
	ds_write_b32 v30, v8
	ds_write_b32 v7, v0 offset:1588
.LBB0_21:
	s_or_b32 exec_lo, exec_lo, s0
	s_waitcnt lgkmcnt(0)
	v_lshlrev_b64 v[0:1], 3, v[2:3]
	v_add_co_u32 v2, s0, s1, v0
	v_add_co_ci_u32_e64 v3, s0, s4, v1, s0
	s_mov_b32 s1, exec_lo
	s_clause 0x2
	global_load_dwordx2 v[8:9], v[2:3], off offset:352
	global_load_dwordx2 v[10:11], v[2:3], off offset:704
	;; [unrolled: 1-line block ×3, first 2 shown]
	ds_write_b32 v30, v7 offset:4
	ds_write_b64 v6, v[4:5] offset:3168
	ds_read_b64 v[4:5], v30 offset:352
	ds_read_b64 v[14:15], v6 offset:2816
	s_waitcnt lgkmcnt(0)
	v_sub_f32_e32 v7, v4, v14
	v_add_f32_e32 v16, v5, v15
	v_sub_f32_e32 v5, v5, v15
	v_add_f32_e32 v14, v4, v14
	v_mul_f32_e32 v7, 0.5, v7
	v_mul_f32_e32 v15, 0.5, v16
	v_mul_f32_e32 v5, 0.5, v5
	s_waitcnt vmcnt(2)
	v_mul_f32_e32 v16, v9, v7
	v_fma_f32 v17, v15, v9, v5
	v_fma_f32 v9, v15, v9, -v5
	v_fma_f32 v4, 0.5, v14, v16
	v_fma_f32 v14, v14, 0.5, -v16
	v_fma_f32 v5, -v8, v7, v17
	v_fma_f32 v9, -v8, v7, v9
	v_fmac_f32_e32 v4, v8, v15
	v_fma_f32 v8, -v8, v15, v14
	ds_write_b64 v30, v[4:5] offset:352
	ds_write_b64 v6, v[8:9] offset:2816
	ds_read_b64 v[4:5], v30 offset:704
	ds_read_b64 v[7:8], v6 offset:2464
	s_waitcnt lgkmcnt(0)
	v_sub_f32_e32 v9, v4, v7
	v_add_f32_e32 v14, v5, v8
	v_sub_f32_e32 v5, v5, v8
	v_add_f32_e32 v7, v4, v7
	v_mul_f32_e32 v8, 0.5, v9
	v_mul_f32_e32 v9, 0.5, v14
	v_mul_f32_e32 v5, 0.5, v5
	s_waitcnt vmcnt(1)
	v_mul_f32_e32 v14, v11, v8
	v_fma_f32 v15, v9, v11, v5
	v_fma_f32 v11, v9, v11, -v5
	v_fma_f32 v4, 0.5, v7, v14
	v_fma_f32 v7, v7, 0.5, -v14
	v_fma_f32 v5, -v10, v8, v15
	v_fma_f32 v8, -v10, v8, v11
	v_fmac_f32_e32 v4, v10, v9
	v_fma_f32 v7, -v10, v9, v7
	ds_write_b64 v30, v[4:5] offset:704
	;; [unrolled: 22-line block ×3, first 2 shown]
	ds_write_b64 v6, v[7:8] offset:2112
	v_cmpx_gt_u32_e32 22, v26
	s_cbranch_execz .LBB0_23
; %bb.22:
	global_load_dwordx2 v[2:3], v[2:3], off offset:1408
	ds_read_b64 v[4:5], v30 offset:1408
	ds_read_b64 v[7:8], v6 offset:1760
	s_waitcnt lgkmcnt(0)
	v_sub_f32_e32 v9, v4, v7
	v_add_f32_e32 v10, v5, v8
	v_sub_f32_e32 v5, v5, v8
	v_add_f32_e32 v4, v4, v7
	v_mul_f32_e32 v8, 0.5, v9
	v_mul_f32_e32 v9, 0.5, v10
	;; [unrolled: 1-line block ×3, first 2 shown]
	s_waitcnt vmcnt(0)
	v_mul_f32_e32 v7, v3, v8
	v_fma_f32 v10, v9, v3, v5
	v_fma_f32 v5, v9, v3, -v5
	v_fma_f32 v3, 0.5, v4, v7
	v_fma_f32 v7, v4, 0.5, -v7
	v_fma_f32 v4, -v2, v8, v10
	v_fma_f32 v8, -v2, v8, v5
	v_fmac_f32_e32 v3, v2, v9
	v_fma_f32 v7, -v2, v9, v7
	ds_write_b64 v30, v[3:4] offset:1408
	ds_write_b64 v6, v[7:8] offset:1760
.LBB0_23:
	s_or_b32 exec_lo, exec_lo, s1
	s_waitcnt lgkmcnt(0)
	s_barrier
	buffer_gl0_inv
	s_and_saveexec_b32 s0, vcc_lo
	s_cbranch_execz .LBB0_26
; %bb.24:
	v_add_nc_u32_e32 v2, 0x800, v30
	ds_read2_b64 v[4:7], v30 offset1:44
	ds_read2_b64 v[8:11], v30 offset0:88 offset1:132
	ds_read2_b64 v[12:15], v30 offset0:176 offset1:220
	ds_read_b64 v[20:21], v30 offset:2816
	ds_read2_b64 v[16:19], v2 offset0:8 offset1:52
	v_add_co_u32 v2, vcc_lo, s2, v28
	v_add_co_ci_u32_e32 v3, vcc_lo, s3, v29, vcc_lo
	v_add_co_u32 v0, vcc_lo, v2, v0
	v_add_co_ci_u32_e32 v1, vcc_lo, v3, v1, vcc_lo
	v_cmp_eq_u32_e32 vcc_lo, 43, v26
	v_add_co_u32 v22, s0, 0x800, v0
	v_add_co_ci_u32_e64 v23, s0, 0, v1, s0
	s_waitcnt lgkmcnt(4)
	global_store_dwordx2 v[0:1], v[4:5], off
	global_store_dwordx2 v[0:1], v[6:7], off offset:352
	s_waitcnt lgkmcnt(3)
	global_store_dwordx2 v[0:1], v[8:9], off offset:704
	global_store_dwordx2 v[0:1], v[10:11], off offset:1056
	s_waitcnt lgkmcnt(2)
	global_store_dwordx2 v[0:1], v[12:13], off offset:1408
	;; [unrolled: 3-line block ×3, first 2 shown]
	global_store_dwordx2 v[22:23], v[18:19], off offset:416
	global_store_dwordx2 v[22:23], v[20:21], off offset:768
	s_and_b32 exec_lo, exec_lo, vcc_lo
	s_cbranch_execz .LBB0_26
; %bb.25:
	v_mov_b32_e32 v0, 0
	v_add_co_u32 v2, vcc_lo, 0x800, v2
	v_add_co_ci_u32_e32 v3, vcc_lo, 0, v3, vcc_lo
	ds_read_b64 v[0:1], v0 offset:3168
	s_waitcnt lgkmcnt(0)
	global_store_dwordx2 v[2:3], v[0:1], off offset:1120
.LBB0_26:
	s_endpgm
	.section	.rodata,"a",@progbits
	.p2align	6, 0x0
	.amdhsa_kernel fft_rtc_back_len396_factors_11_9_4_wgs_44_tpt_44_sp_ip_CI_unitstride_sbrr_R2C_dirReg
		.amdhsa_group_segment_fixed_size 0
		.amdhsa_private_segment_fixed_size 0
		.amdhsa_kernarg_size 88
		.amdhsa_user_sgpr_count 6
		.amdhsa_user_sgpr_private_segment_buffer 1
		.amdhsa_user_sgpr_dispatch_ptr 0
		.amdhsa_user_sgpr_queue_ptr 0
		.amdhsa_user_sgpr_kernarg_segment_ptr 1
		.amdhsa_user_sgpr_dispatch_id 0
		.amdhsa_user_sgpr_flat_scratch_init 0
		.amdhsa_user_sgpr_private_segment_size 0
		.amdhsa_wavefront_size32 1
		.amdhsa_uses_dynamic_stack 0
		.amdhsa_system_sgpr_private_segment_wavefront_offset 0
		.amdhsa_system_sgpr_workgroup_id_x 1
		.amdhsa_system_sgpr_workgroup_id_y 0
		.amdhsa_system_sgpr_workgroup_id_z 0
		.amdhsa_system_sgpr_workgroup_info 0
		.amdhsa_system_vgpr_workitem_id 0
		.amdhsa_next_free_vgpr 88
		.amdhsa_next_free_sgpr 21
		.amdhsa_reserve_vcc 1
		.amdhsa_reserve_flat_scratch 0
		.amdhsa_float_round_mode_32 0
		.amdhsa_float_round_mode_16_64 0
		.amdhsa_float_denorm_mode_32 3
		.amdhsa_float_denorm_mode_16_64 3
		.amdhsa_dx10_clamp 1
		.amdhsa_ieee_mode 1
		.amdhsa_fp16_overflow 0
		.amdhsa_workgroup_processor_mode 1
		.amdhsa_memory_ordered 1
		.amdhsa_forward_progress 0
		.amdhsa_shared_vgpr_count 0
		.amdhsa_exception_fp_ieee_invalid_op 0
		.amdhsa_exception_fp_denorm_src 0
		.amdhsa_exception_fp_ieee_div_zero 0
		.amdhsa_exception_fp_ieee_overflow 0
		.amdhsa_exception_fp_ieee_underflow 0
		.amdhsa_exception_fp_ieee_inexact 0
		.amdhsa_exception_int_div_zero 0
	.end_amdhsa_kernel
	.text
.Lfunc_end0:
	.size	fft_rtc_back_len396_factors_11_9_4_wgs_44_tpt_44_sp_ip_CI_unitstride_sbrr_R2C_dirReg, .Lfunc_end0-fft_rtc_back_len396_factors_11_9_4_wgs_44_tpt_44_sp_ip_CI_unitstride_sbrr_R2C_dirReg
                                        ; -- End function
	.section	.AMDGPU.csdata,"",@progbits
; Kernel info:
; codeLenInByte = 6528
; NumSgprs: 23
; NumVgprs: 88
; ScratchSize: 0
; MemoryBound: 0
; FloatMode: 240
; IeeeMode: 1
; LDSByteSize: 0 bytes/workgroup (compile time only)
; SGPRBlocks: 2
; VGPRBlocks: 10
; NumSGPRsForWavesPerEU: 23
; NumVGPRsForWavesPerEU: 88
; Occupancy: 10
; WaveLimiterHint : 1
; COMPUTE_PGM_RSRC2:SCRATCH_EN: 0
; COMPUTE_PGM_RSRC2:USER_SGPR: 6
; COMPUTE_PGM_RSRC2:TRAP_HANDLER: 0
; COMPUTE_PGM_RSRC2:TGID_X_EN: 1
; COMPUTE_PGM_RSRC2:TGID_Y_EN: 0
; COMPUTE_PGM_RSRC2:TGID_Z_EN: 0
; COMPUTE_PGM_RSRC2:TIDIG_COMP_CNT: 0
	.text
	.p2alignl 6, 3214868480
	.fill 48, 4, 3214868480
	.type	__hip_cuid_b1cf0ab6bd187b26,@object ; @__hip_cuid_b1cf0ab6bd187b26
	.section	.bss,"aw",@nobits
	.globl	__hip_cuid_b1cf0ab6bd187b26
__hip_cuid_b1cf0ab6bd187b26:
	.byte	0                               ; 0x0
	.size	__hip_cuid_b1cf0ab6bd187b26, 1

	.ident	"AMD clang version 19.0.0git (https://github.com/RadeonOpenCompute/llvm-project roc-6.4.0 25133 c7fe45cf4b819c5991fe208aaa96edf142730f1d)"
	.section	".note.GNU-stack","",@progbits
	.addrsig
	.addrsig_sym __hip_cuid_b1cf0ab6bd187b26
	.amdgpu_metadata
---
amdhsa.kernels:
  - .args:
      - .actual_access:  read_only
        .address_space:  global
        .offset:         0
        .size:           8
        .value_kind:     global_buffer
      - .offset:         8
        .size:           8
        .value_kind:     by_value
      - .actual_access:  read_only
        .address_space:  global
        .offset:         16
        .size:           8
        .value_kind:     global_buffer
      - .actual_access:  read_only
        .address_space:  global
        .offset:         24
        .size:           8
        .value_kind:     global_buffer
      - .offset:         32
        .size:           8
        .value_kind:     by_value
      - .actual_access:  read_only
        .address_space:  global
        .offset:         40
        .size:           8
        .value_kind:     global_buffer
      - .actual_access:  read_only
        .address_space:  global
        .offset:         48
        .size:           8
        .value_kind:     global_buffer
      - .offset:         56
        .size:           4
        .value_kind:     by_value
      - .actual_access:  read_only
        .address_space:  global
        .offset:         64
        .size:           8
        .value_kind:     global_buffer
      - .actual_access:  read_only
        .address_space:  global
        .offset:         72
        .size:           8
        .value_kind:     global_buffer
      - .address_space:  global
        .offset:         80
        .size:           8
        .value_kind:     global_buffer
    .group_segment_fixed_size: 0
    .kernarg_segment_align: 8
    .kernarg_segment_size: 88
    .language:       OpenCL C
    .language_version:
      - 2
      - 0
    .max_flat_workgroup_size: 44
    .name:           fft_rtc_back_len396_factors_11_9_4_wgs_44_tpt_44_sp_ip_CI_unitstride_sbrr_R2C_dirReg
    .private_segment_fixed_size: 0
    .sgpr_count:     23
    .sgpr_spill_count: 0
    .symbol:         fft_rtc_back_len396_factors_11_9_4_wgs_44_tpt_44_sp_ip_CI_unitstride_sbrr_R2C_dirReg.kd
    .uniform_work_group_size: 1
    .uses_dynamic_stack: false
    .vgpr_count:     88
    .vgpr_spill_count: 0
    .wavefront_size: 32
    .workgroup_processor_mode: 1
amdhsa.target:   amdgcn-amd-amdhsa--gfx1030
amdhsa.version:
  - 1
  - 2
...

	.end_amdgpu_metadata
